;; amdgpu-corpus repo=ROCm/rocFFT kind=compiled arch=gfx950 opt=O3
	.text
	.amdgcn_target "amdgcn-amd-amdhsa--gfx950"
	.amdhsa_code_object_version 6
	.protected	bluestein_single_fwd_len70_dim1_sp_op_CI_CI ; -- Begin function bluestein_single_fwd_len70_dim1_sp_op_CI_CI
	.globl	bluestein_single_fwd_len70_dim1_sp_op_CI_CI
	.p2align	8
	.type	bluestein_single_fwd_len70_dim1_sp_op_CI_CI,@function
bluestein_single_fwd_len70_dim1_sp_op_CI_CI: ; @bluestein_single_fwd_len70_dim1_sp_op_CI_CI
; %bb.0:
	s_load_dwordx4 s[12:15], s[0:1], 0x28
	v_mul_u32_u24_e32 v1, 0x124a, v0
	v_lshrrev_b32_e32 v2, 16, v1
	v_mad_u64_u32 v[34:35], s[2:3], s2, 18, v[2:3]
	v_mov_b32_e32 v31, 0
	v_mov_b32_e32 v35, v31
	s_waitcnt lgkmcnt(0)
	v_cmp_gt_u64_e32 vcc, s[12:13], v[34:35]
	s_and_saveexec_b64 s[2:3], vcc
	s_cbranch_execz .LBB0_25
; %bb.1:
	s_load_dwordx4 s[4:7], s[0:1], 0x18
	s_load_dwordx2 s[12:13], s[0:1], 0x0
	v_mul_lo_u16_e32 v1, 14, v2
	v_sub_u16_e32 v30, v0, v1
	v_mov_b32_e32 v4, s14
	s_waitcnt lgkmcnt(0)
	s_load_dwordx4 s[8:11], s[4:5], 0x0
	v_mov_b32_e32 v5, s15
	v_cmp_gt_u16_e32 vcc, 7, v30
	s_waitcnt lgkmcnt(0)
	v_mad_u64_u32 v[0:1], s[2:3], s10, v34, 0
	v_mov_b32_e32 v2, v1
	v_mad_u64_u32 v[2:3], s[2:3], s11, v34, v[2:3]
	v_mov_b32_e32 v1, v2
	v_mad_u64_u32 v[2:3], s[2:3], s8, v30, 0
	v_mov_b32_e32 v6, v3
	v_mad_u64_u32 v[6:7], s[2:3], s9, v30, v[6:7]
	s_mul_i32 s2, s9, 35
	s_mul_hi_u32 s3, s8, 35
	v_mov_b32_e32 v3, v6
	v_lshl_add_u64 v[0:1], v[0:1], 3, v[4:5]
	s_add_i32 s3, s3, s2
	s_mul_i32 s2, s8, 35
	s_mul_hi_u32 s10, s8, 0xffffffeb
	v_lshl_add_u64 v[0:1], v[2:3], 3, v[0:1]
	v_lshlrev_b32_e32 v2, 3, v30
	s_lshl_b64 s[4:5], s[2:3], 3
	s_mulk_i32 s9, 0xffeb
	s_sub_i32 s10, s10, s8
	global_load_dwordx2 v[40:41], v2, s[12:13]
	global_load_dwordx2 v[38:39], v2, s[12:13] offset:280
	v_lshl_add_u64 v[4:5], v[0:1], 0, s[4:5]
	global_load_dwordx2 v[6:7], v[0:1], off
	global_load_dwordx2 v[8:9], v[4:5], off
	s_add_i32 s11, s10, s9
	s_mul_i32 s10, s8, 0xffffffeb
	v_lshl_add_u64 v[0:1], s[10:11], 3, v[4:5]
	global_load_dwordx2 v[4:5], v[0:1], off
	global_load_dwordx2 v[36:37], v2, s[12:13] offset:392
	global_load_dwordx2 v[42:43], v2, s[12:13] offset:112
	v_lshl_add_u64 v[0:1], v[0:1], 0, s[4:5]
	global_load_dwordx2 v[10:11], v[0:1], off
	s_mov_b32 s4, 0x38e38e39
	v_mul_hi_u32 v12, v34, s4
	v_lshrrev_b32_e32 v12, 2, v12
	v_mul_lo_u32 v12, v12, 18
	v_sub_u32_e32 v12, v34, v12
	v_mul_u32_u24_e32 v12, 0x46, v12
	v_mov_b32_e32 v3, v31
	v_lshlrev_b32_e32 v56, 3, v12
	s_load_dwordx2 s[8:9], s[0:1], 0x38
	v_lshl_add_u64 v[32:33], s[12:13], 0, v[2:3]
	s_load_dwordx4 s[4:7], s[6:7], 0x0
	v_add_u32_e32 v35, v2, v56
	s_waitcnt vmcnt(5)
	v_mul_f32_e32 v2, v7, v41
	v_mul_f32_e32 v3, v6, v41
	v_fmac_f32_e32 v2, v6, v40
	v_fma_f32 v3, v7, v40, -v3
	s_waitcnt vmcnt(4)
	v_mul_f32_e32 v6, v9, v39
	v_mul_f32_e32 v7, v8, v39
	v_fmac_f32_e32 v6, v8, v38
	v_fma_f32 v7, v9, v38, -v7
	;; [unrolled: 5-line block ×4, first 2 shown]
	ds_write_b64 v35, v[6:7] offset:280
	ds_write2_b64 v35, v[2:3], v[8:9] offset1:14
	ds_write_b64 v35, v[4:5] offset:392
	s_and_saveexec_b64 s[14:15], vcc
	s_cbranch_execz .LBB0_3
; %bb.2:
	v_lshl_add_u64 v[0:1], s[10:11], 3, v[0:1]
	global_load_dwordx2 v[2:3], v[0:1], off
	global_load_dwordx2 v[4:5], v[32:33], off offset:224
	global_load_dwordx2 v[6:7], v[32:33], off offset:504
	v_lshl_add_u64 v[0:1], s[2:3], 3, v[0:1]
	global_load_dwordx2 v[0:1], v[0:1], off
	s_waitcnt vmcnt(2)
	v_mul_f32_e32 v8, v3, v5
	v_mul_f32_e32 v5, v2, v5
	v_fmac_f32_e32 v8, v2, v4
	v_fma_f32 v9, v3, v4, -v5
	s_waitcnt vmcnt(0)
	v_mul_f32_e32 v2, v1, v7
	v_mul_f32_e32 v3, v0, v7
	v_fmac_f32_e32 v2, v0, v6
	v_fma_f32 v3, v1, v6, -v3
	ds_write2_b64 v35, v[8:9], v[2:3] offset0:28 offset1:63
.LBB0_3:
	s_or_b64 exec, exec, s[14:15]
	s_load_dwordx2 s[10:11], s[0:1], 0x8
	s_waitcnt lgkmcnt(0)
	s_barrier
	ds_read2_b64 v[4:7], v35 offset1:14
	ds_read2_b64 v[8:11], v35 offset0:35 offset1:49
                                        ; implicit-def: $vgpr0
	s_and_saveexec_b64 s[0:1], vcc
	s_cbranch_execz .LBB0_5
; %bb.4:
	ds_read2_b64 v[0:3], v35 offset0:28 offset1:63
.LBB0_5:
	s_or_b64 exec, exec, s[0:1]
	v_lshl_add_u64 v[14:15], v[30:31], 0, 28
	s_waitcnt lgkmcnt(0)
	v_pk_add_f32 v[12:13], v[4:5], v[8:9] neg_lo:[0,1] neg_hi:[0,1]
	v_pk_add_f32 v[8:9], v[6:7], v[10:11] neg_lo:[0,1] neg_hi:[0,1]
	;; [unrolled: 1-line block ×3, first 2 shown]
	v_lshlrev_b16_e32 v2, 1, v30
	v_lshl_add_u32 v57, v2, 3, v56
	v_pk_fma_f32 v[10:11], v[4:5], 2.0, v[12:13] op_sel_hi:[1,0,1] neg_lo:[0,0,1] neg_hi:[0,0,1]
	v_lshl_add_u32 v54, v30, 4, v56
	v_pk_fma_f32 v[6:7], v[6:7], 2.0, v[8:9] op_sel_hi:[1,0,1] neg_lo:[0,0,1] neg_hi:[0,0,1]
	v_lshl_add_u32 v31, v14, 4, v56
	s_barrier
	ds_write_b128 v57, v[10:13]
	ds_write_b128 v54, v[6:9] offset:224
	s_and_saveexec_b64 s[0:1], vcc
	s_cbranch_execz .LBB0_7
; %bb.6:
	v_pk_fma_f32 v[18:19], v[0:1], 2.0, v[20:21] op_sel_hi:[1,0,1] neg_lo:[0,0,1] neg_hi:[0,0,1]
	ds_write_b128 v31, v[18:21]
.LBB0_7:
	s_or_b64 exec, exec, s[0:1]
	v_and_b32_e32 v18, 1, v30
	v_lshlrev_b32_e32 v8, 5, v18
	s_waitcnt lgkmcnt(0)
	s_barrier
	global_load_dwordx4 v[4:7], v8, s[10:11]
	global_load_dwordx4 v[0:3], v8, s[10:11] offset:16
	ds_read2_b64 v[8:11], v35 offset1:14
	ds_read2_b64 v[12:15], v35 offset0:28 offset1:42
	ds_read_b64 v[16:17], v35 offset:448
	v_lshrrev_b32_e32 v19, 1, v30
	v_mul_u32_u24_e32 v19, 10, v19
	v_or_b32_e32 v18, v19, v18
	v_lshl_add_u32 v58, v18, 3, v56
	s_mov_b32 s2, 0x3f737871
	s_mov_b32 s3, 0x3f167918
	s_mov_b32 s14, s3
	s_mov_b32 s15, s2
	s_mov_b32 s16, s3
	s_mov_b32 s0, 0x3e9e377a
	s_waitcnt lgkmcnt(0)
	s_barrier
	s_waitcnt vmcnt(1)
	v_pk_mul_f32 v[18:19], v[10:11], v[4:5] op_sel:[0,1]
	v_mov_b32_e32 v22, v7
	s_waitcnt vmcnt(0)
	v_pk_mul_f32 v[24:25], v[14:15], v[0:1] op_sel:[0,1]
	v_mov_b32_e32 v26, v3
	v_pk_fma_f32 v[28:29], v[10:11], v[4:5], v[18:19] op_sel:[0,0,1] op_sel_hi:[1,0,0]
	v_pk_fma_f32 v[10:11], v[10:11], v[4:5], v[18:19] op_sel:[0,0,1] op_sel_hi:[1,0,0] neg_lo:[0,0,1] neg_hi:[0,0,1]
	v_pk_mul_f32 v[18:19], v[12:13], v[22:23] op_sel_hi:[1,0]
	v_pk_fma_f32 v[22:23], v[14:15], v[0:1], v[24:25] op_sel:[0,0,1] op_sel_hi:[1,0,0]
	v_pk_fma_f32 v[14:15], v[14:15], v[0:1], v[24:25] op_sel:[0,0,1] op_sel_hi:[1,0,0] neg_lo:[0,0,1] neg_hi:[0,0,1]
	v_pk_mul_f32 v[24:25], v[16:17], v[26:27] op_sel_hi:[1,0]
	v_mov_b32_e32 v11, v29
	v_pk_fma_f32 v[26:27], v[12:13], v[6:7], v[18:19] op_sel:[0,0,1] op_sel_hi:[1,0,0]
	v_pk_fma_f32 v[12:13], v[12:13], v[6:7], v[18:19] op_sel:[0,0,1] op_sel_hi:[1,0,0] neg_lo:[0,0,1] neg_hi:[0,0,1]
	v_pk_fma_f32 v[18:19], v[16:17], v[2:3], v[24:25] op_sel:[0,0,1] op_sel_hi:[1,0,0]
	v_pk_fma_f32 v[16:17], v[16:17], v[2:3], v[24:25] op_sel:[0,0,1] op_sel_hi:[1,0,0] neg_lo:[0,0,1] neg_hi:[0,0,1]
	v_mov_b32_e32 v15, v23
	v_mov_b32_e32 v25, v10
	;; [unrolled: 1-line block ×15, first 2 shown]
	v_pk_add_f32 v[50:51], v[8:9], v[10:11]
	v_pk_add_f32 v[24:25], v[24:25], v[44:45] neg_lo:[0,1] neg_hi:[0,1]
	v_pk_add_f32 v[44:45], v[46:47], v[48:49] neg_lo:[0,1] neg_hi:[0,1]
	;; [unrolled: 1-line block ×4, first 2 shown]
	v_pk_add_f32 v[22:23], v[50:51], v[12:13]
	v_pk_add_f32 v[28:29], v[10:11], v[16:17] neg_lo:[0,1] neg_hi:[0,1]
	v_pk_add_f32 v[48:49], v[12:13], v[14:15] neg_lo:[0,1] neg_hi:[0,1]
	v_pk_add_f32 v[10:11], v[10:11], v[16:17]
	v_pk_add_f32 v[12:13], v[12:13], v[14:15]
	;; [unrolled: 1-line block ×5, first 2 shown]
	v_mov_b32_e32 v25, v49
	v_pk_fma_f32 v[10:11], v[10:11], 0.5, v[8:9] op_sel_hi:[1,0,1] neg_lo:[1,0,0] neg_hi:[1,0,0]
	v_pk_mul_f32 v[26:27], v[48:49], s[2:3] op_sel_hi:[1,0]
	v_mov_b32_e32 v49, v28
	v_pk_fma_f32 v[8:9], v[12:13], 0.5, v[8:9] op_sel_hi:[1,0,1] neg_lo:[1,0,0] neg_hi:[1,0,0]
	v_mov_b32_e32 v24, v29
	v_pk_mul_f32 v[28:29], v[28:29], s[16:17] op_sel_hi:[1,0]
	v_pk_add_f32 v[22:23], v[14:15], v[16:17]
	v_pk_add_f32 v[16:17], v[26:27], v[10:11] op_sel:[1,0] op_sel_hi:[0,1]
	v_pk_mul_f32 v[52:53], v[48:49], s[14:15]
	v_pk_add_f32 v[10:11], v[10:11], v[26:27] op_sel:[0,1] op_sel_hi:[1,0] neg_lo:[0,1] neg_hi:[0,1]
	v_pk_fma_f32 v[26:27], v[48:49], s[14:15], v[8:9] neg_lo:[1,0,0] neg_hi:[1,0,0]
	v_mov_b32_e32 v46, v29
	v_mov_b32_e32 v47, v52
	v_pk_add_f32 v[64:65], v[16:17], v[28:29] op_sel:[0,1] op_sel_hi:[1,0] neg_lo:[0,1] neg_hi:[0,1]
	v_mov_b32_e32 v17, v27
	v_pk_mul_f32 v[14:15], v[24:25], s[2:3]
	v_pk_add_f32 v[16:17], v[16:17], v[46:47] neg_lo:[0,1] neg_hi:[0,1]
	v_pk_fma_f32 v[60:61], v[24:25], s[2:3], v[8:9]
	v_pk_add_f32 v[62:63], v[10:11], v[28:29] op_sel:[0,1] op_sel_hi:[1,0]
	v_mov_b32_e32 v29, v15
	v_pk_fma_f32 v[46:47], v[18:19], s[0:1], v[16:17] op_sel_hi:[1,0,1]
	v_pk_fma_f32 v[16:17], v[24:25], s[2:3], v[8:9] neg_lo:[1,0,0] neg_hi:[1,0,0]
	v_pk_fma_f32 v[8:9], v[48:49], s[14:15], v[8:9]
	v_mov_b32_e32 v14, v15
	v_mov_b32_e32 v15, v52
	v_pk_add_f32 v[16:17], v[16:17], v[14:15] neg_lo:[0,1] neg_hi:[0,1]
	v_pk_add_f32 v[8:9], v[8:9], v[14:15]
	v_pk_mul_f32 v[12:13], v[44:45], s[0:1] op_sel_hi:[1,0]
	v_mov_b32_e32 v17, v9
	v_mov_b32_e32 v8, v11
	;; [unrolled: 1-line block ×3, first 2 shown]
	v_pk_add_f32 v[8:9], v[28:29], v[8:9]
	v_pk_mul_f32 v[50:51], v[18:19], s[0:1] op_sel_hi:[1,0]
	v_pk_fma_f32 v[28:29], v[44:45], s[0:1], v[8:9] op_sel_hi:[1,0,1]
	v_mov_b32_e32 v66, v50
	v_mov_b32_e32 v67, v12
	;; [unrolled: 1-line block ×6, first 2 shown]
	v_pk_add_f32 v[26:27], v[66:67], v[62:63]
	v_pk_add_f32 v[24:25], v[50:51], v[16:17]
	ds_write2_b64 v58, v[22:23], v[8:9] offset1:2
	v_mov_b32_e32 v8, v46
	v_mov_b32_e32 v9, v28
	v_cmp_gt_u16_e64 s[0:1], 10, v30
	v_cmp_lt_u16_e64 s[2:3], 9, v30
	ds_write2_b64 v58, v[26:27], v[8:9] offset0:4 offset1:6
	ds_write_b64 v58, v[24:25] offset:64
	s_waitcnt lgkmcnt(0)
	s_barrier
	s_waitcnt lgkmcnt(0)
                                        ; implicit-def: $vgpr48_vgpr49
	s_and_saveexec_b64 s[14:15], s[2:3]
	s_xor_b64 s[2:3], exec, s[14:15]
; %bb.8:
	v_mov_b32_e32 v48, v25
; %bb.9:
	s_andn2_saveexec_b64 s[2:3], s[2:3]
	s_cbranch_execz .LBB0_11
; %bb.10:
	ds_read2_b64 v[26:29], v35 offset0:20 offset1:30
	ds_read2_b64 v[22:25], v35 offset1:10
	ds_read2_b64 v[18:21], v35 offset0:40 offset1:50
	ds_read_b64 v[8:9], v35 offset:480
	s_waitcnt lgkmcnt(3)
	v_mov_b32_e32 v46, v28
	s_waitcnt lgkmcnt(2)
	v_mov_b32_e32 v47, v25
	v_mov_b32_e32 v28, v29
	;; [unrolled: 1-line block ×3, first 2 shown]
	s_waitcnt lgkmcnt(1)
	v_mov_b32_e32 v24, v18
	s_waitcnt lgkmcnt(0)
	v_mov_b32_e32 v25, v9
	v_mov_b32_e32 v48, v19
	;; [unrolled: 1-line block ×3, first 2 shown]
.LBB0_11:
	s_or_b64 exec, exec, s[2:3]
	v_add_u32_e32 v8, -10, v30
	v_cndmask_b32_e64 v8, v8, v30, s[0:1]
	v_mul_hi_i32_i24_e32 v9, 48, v8
	v_mul_i32_i24_e32 v8, 48, v8
	v_lshl_add_u64 v[44:45], s[10:11], 0, v[8:9]
	global_load_dwordx4 v[16:19], v[44:45], off offset:80
	global_load_dwordx4 v[8:11], v[44:45], off offset:64
	;; [unrolled: 1-line block ×3, first 2 shown]
	v_mov_b32_e32 v50, v29
	v_mov_b32_e32 v62, v49
	;; [unrolled: 1-line block ×14, first 2 shown]
	s_mov_b32 s10, 0x3d64c772
	s_mov_b32 s11, 0x3f4a47b2
	;; [unrolled: 1-line block ×9, first 2 shown]
	s_waitcnt vmcnt(2)
	v_mov_b32_e32 v44, v19
	v_mov_b32_e32 v45, v18
	s_waitcnt vmcnt(1)
	v_pk_mul_f32 v[18:19], v[46:47], v[8:9]
	s_waitcnt vmcnt(0)
	v_pk_mul_f32 v[74:75], v[24:25], v[14:15]
	v_mov_b32_e32 v78, v17
	v_mov_b32_e32 v79, v9
	;; [unrolled: 1-line block ×11, first 2 shown]
	v_pk_mul_f32 v[28:29], v[28:29], v[78:79]
	v_mov_b32_e32 v78, v75
	v_mov_b32_e32 v85, v44
	;; [unrolled: 1-line block ×6, first 2 shown]
	v_pk_mul_f32 v[26:27], v[26:27], v[18:19]
	v_pk_mul_f32 v[20:21], v[20:21], v[72:73]
	;; [unrolled: 1-line block ×3, first 2 shown]
	v_mov_b32_e32 v18, v19
	v_mov_b32_e32 v75, v45
	;; [unrolled: 1-line block ×3, first 2 shown]
	v_pk_fma_f32 v[82:83], v[46:47], v[76:77], v[28:29]
	v_pk_fma_f32 v[28:29], v[46:47], v[76:77], v[28:29] neg_lo:[0,0,1] neg_hi:[0,0,1]
	v_pk_fma_f32 v[46:47], v[62:63], v[14:15], v[78:79] neg_lo:[0,0,1] neg_hi:[0,0,1]
	v_pk_mul_f32 v[62:63], v[70:71], v[84:85]
	v_pk_mul_f32 v[48:49], v[48:49], v[86:87]
	v_pk_fma_f32 v[18:19], v[50:51], v[8:9], v[18:19] neg_lo:[0,0,1] neg_hi:[0,0,1]
	v_pk_fma_f32 v[26:27], v[52:53], v[10:11], v[26:27]
	v_pk_fma_f32 v[20:21], v[60:61], v[12:13], v[20:21]
	v_pk_fma_f32 v[50:51], v[50:51], v[16:17], v[66:67] op_sel:[0,1,0] op_sel_hi:[1,0,1]
	v_pk_fma_f32 v[60:61], v[64:65], v[80:81], v[66:67] neg_lo:[0,0,1] neg_hi:[0,0,1]
	v_pk_fma_f32 v[52:53], v[52:53], v[44:45], v[62:63]
	v_pk_fma_f32 v[62:63], v[68:69], v[74:75], v[62:63] neg_lo:[0,0,1] neg_hi:[0,0,1]
	v_pk_fma_f32 v[68:69], v[24:25], v[72:73], v[48:49]
	v_pk_fma_f32 v[24:25], v[24:25], v[72:73], v[48:49] neg_lo:[0,0,1] neg_hi:[0,0,1]
	v_pk_add_f32 v[66:67], v[26:27], v[20:21]
	v_mov_b32_e32 v29, v83
	v_mov_b32_e32 v61, v51
	;; [unrolled: 1-line block ×6, first 2 shown]
	v_pk_add_f32 v[64:65], v[18:19], v[46:47]
	v_mov_b32_e32 v48, v83
	v_mov_b32_e32 v49, v18
	;; [unrolled: 1-line block ×8, first 2 shown]
	v_pk_add_f32 v[20:21], v[26:27], v[20:21] neg_lo:[0,1] neg_hi:[0,1]
	v_pk_add_f32 v[24:25], v[28:29], v[24:25]
	v_pk_add_f32 v[26:27], v[60:61], v[62:63]
	v_mov_b32_e32 v53, v66
	v_pk_add_f32 v[18:19], v[48:49], v[18:19] neg_lo:[0,1] neg_hi:[0,1]
	v_pk_add_f32 v[28:29], v[50:51], v[46:47] neg_lo:[0,1] neg_hi:[0,1]
	v_mov_b32_e32 v52, v26
	v_mov_b32_e32 v65, v25
	v_pk_add_f32 v[46:47], v[24:25], v[26:27] neg_lo:[0,1] neg_hi:[0,1]
	v_mov_b32_e32 v26, v64
	v_mov_b32_e32 v25, v66
	v_pk_add_f32 v[48:49], v[52:53], v[64:65]
	v_pk_add_f32 v[50:51], v[26:27], v[24:25] neg_lo:[0,1] neg_hi:[0,1]
	v_mov_b32_e32 v62, v28
	v_mov_b32_e32 v63, v19
	;; [unrolled: 1-line block ×5, first 2 shown]
	v_pk_add_f32 v[60:61], v[28:29], v[20:21]
	v_pk_add_f32 v[62:63], v[62:63], v[66:67] neg_lo:[0,1] neg_hi:[0,1]
	v_mov_b32_e32 v66, v18
	v_mov_b32_e32 v29, v21
	v_pk_add_f32 v[24:25], v[24:25], v[48:49]
	v_pk_add_f32 v[28:29], v[66:67], v[28:29] neg_lo:[0,1] neg_hi:[0,1]
	v_pk_add_f32 v[22:23], v[22:23], v[24:25]
	v_pk_mul_f32 v[48:49], v[46:47], s[10:11]
	v_pk_mul_f32 v[50:51], v[50:51], s[14:15]
	v_pk_add_f32 v[26:27], v[60:61], v[18:19]
	v_pk_mul_f32 v[28:29], v[28:29], s[16:17]
	v_pk_mul_f32 v[60:61], v[62:63], s[18:19]
	v_pk_fma_f32 v[24:25], v[24:25], s[2:3], v[22:23] op_sel_hi:[1,0,1]
	v_pk_fma_f32 v[46:47], v[46:47], s[10:11], v[50:51]
	v_pk_add_f32 v[52:53], v[52:53], v[64:65] neg_lo:[0,1] neg_hi:[0,1]
	v_pk_add_f32 v[18:19], v[20:21], v[18:19] neg_lo:[0,1] neg_hi:[0,1]
	s_mov_b32 s2, 0x3f3bfb3b
	v_mov_b32_e32 v21, v51
	v_mov_b32_e32 v51, v49
	v_pk_fma_f32 v[62:63], v[62:63], s[18:19], v[28:29]
	s_mov_b32 s10, 0x3f5ff5aa
	v_mov_b32_e32 v20, v48
	v_pk_fma_f32 v[48:49], v[52:53], s[2:3], v[50:51] op_sel_hi:[1,0,1] neg_lo:[1,0,1] neg_hi:[1,0,1]
	v_mov_b32_e32 v50, v60
	v_mov_b32_e32 v51, v29
	v_mov_b32_e32 v29, v61
	s_mov_b32 s14, 0x3ee1c552
	v_pk_fma_f32 v[20:21], v[52:53], s[2:3], v[20:21] op_sel_hi:[1,0,1] neg_lo:[0,0,1] neg_hi:[0,0,1]
	v_pk_fma_f32 v[50:51], v[18:19], s[10:11], v[50:51] op_sel_hi:[1,0,1] neg_lo:[0,0,1] neg_hi:[0,0,1]
	;; [unrolled: 1-line block ×3, first 2 shown]
	v_pk_add_f32 v[46:47], v[46:47], v[24:25]
	v_pk_fma_f32 v[62:63], v[26:27], s[14:15], v[62:63] op_sel_hi:[1,0,1]
	v_pk_add_f32 v[20:21], v[20:21], v[24:25]
	v_pk_add_f32 v[48:49], v[48:49], v[24:25]
	v_pk_fma_f32 v[28:29], v[26:27], s[14:15], v[50:51] op_sel_hi:[1,0,1]
	v_pk_fma_f32 v[50:51], v[26:27], s[14:15], v[18:19] op_sel_hi:[1,0,1]
	v_pk_add_f32 v[24:25], v[20:21], v[28:29]
	v_pk_add_f32 v[26:27], v[20:21], v[28:29] neg_lo:[0,1] neg_hi:[0,1]
	v_pk_add_f32 v[28:29], v[48:49], v[50:51] neg_lo:[0,1] neg_hi:[0,1]
	v_pk_add_f32 v[48:49], v[48:49], v[50:51]
	v_pk_add_f32 v[50:51], v[46:47], v[62:63]
	v_pk_add_f32 v[52:53], v[46:47], v[62:63] neg_lo:[0,1] neg_hi:[0,1]
	v_mov_b32_e32 v18, v24
	v_mov_b32_e32 v19, v27
	;; [unrolled: 1-line block ×6, first 2 shown]
	s_and_saveexec_b64 s[2:3], s[0:1]
	s_cbranch_execz .LBB0_13
; %bb.12:
	ds_write_b64 v35, v[22:23]
	v_lshl_add_u32 v22, v30, 3, v56
	v_mov_b32_e32 v51, v53
	v_mov_b32_e32 v49, v29
	;; [unrolled: 1-line block ×3, first 2 shown]
	ds_write2_b64 v22, v[50:51], v[48:49] offset0:10 offset1:20
	ds_write2_b64 v22, v[26:27], v[18:19] offset0:30 offset1:40
	;; [unrolled: 1-line block ×3, first 2 shown]
.LBB0_13:
	s_or_b64 exec, exec, s[2:3]
	s_add_u32 s2, s12, 0x230
	s_waitcnt lgkmcnt(0)
	s_barrier
	global_load_dwordx2 v[28:29], v[32:33], off offset:560
	s_addc_u32 s3, s13, 0
	v_lshlrev_b32_e32 v22, 3, v30
	global_load_dwordx2 v[52:53], v22, s[2:3] offset:280
	global_load_dwordx2 v[60:61], v22, s[2:3] offset:392
	;; [unrolled: 1-line block ×3, first 2 shown]
	ds_read2_b64 v[24:27], v35 offset1:14
	ds_read2_b64 v[48:51], v35 offset0:35 offset1:49
	s_waitcnt vmcnt(3) lgkmcnt(1)
	v_mul_f32_e32 v23, v25, v29
	v_mul_f32_e32 v65, v24, v29
	v_fma_f32 v64, v24, v28, -v23
	v_fmac_f32_e32 v65, v25, v28
	s_waitcnt vmcnt(0)
	v_mul_f32_e32 v28, v27, v63
	v_mul_f32_e32 v29, v26, v63
	s_waitcnt lgkmcnt(0)
	v_mul_f32_e32 v23, v49, v53
	v_mul_f32_e32 v25, v48, v53
	;; [unrolled: 1-line block ×4, first 2 shown]
	v_fma_f32 v28, v26, v62, -v28
	v_fmac_f32_e32 v29, v27, v62
	v_fma_f32 v24, v48, v52, -v23
	v_fmac_f32_e32 v25, v49, v52
	;; [unrolled: 2-line block ×3, first 2 shown]
	ds_write2_b64 v35, v[64:65], v[28:29] offset1:14
	ds_write2_b64 v35, v[24:25], v[52:53] offset0:35 offset1:49
	s_and_saveexec_b64 s[10:11], vcc
	s_cbranch_execz .LBB0_15
; %bb.14:
	v_mov_b32_e32 v23, 0
	v_lshl_add_u64 v[22:23], s[2:3], 0, v[22:23]
	global_load_dwordx2 v[26:27], v[22:23], off offset:224
	global_load_dwordx2 v[28:29], v[22:23], off offset:504
	ds_read2_b64 v[22:25], v35 offset0:28 offset1:63
	s_waitcnt vmcnt(1) lgkmcnt(0)
	v_mul_f32_e32 v48, v23, v27
	v_mul_f32_e32 v49, v22, v27
	s_waitcnt vmcnt(0)
	v_mul_f32_e32 v50, v25, v29
	v_mul_f32_e32 v27, v24, v29
	v_fma_f32 v48, v22, v26, -v48
	v_fmac_f32_e32 v49, v23, v26
	v_fma_f32 v26, v24, v28, -v50
	v_fmac_f32_e32 v27, v25, v28
	ds_write2_b64 v35, v[48:49], v[26:27] offset0:28 offset1:63
.LBB0_15:
	s_or_b64 exec, exec, s[10:11]
	s_waitcnt lgkmcnt(0)
	s_barrier
	ds_read2_b64 v[22:25], v35 offset1:14
	ds_read2_b64 v[26:29], v35 offset0:35 offset1:49
	v_add_u32_e32 v59, 0xe0, v54
	s_and_saveexec_b64 s[2:3], vcc
	s_cbranch_execz .LBB0_17
; %bb.16:
	ds_read2_b64 v[18:21], v35 offset0:28 offset1:63
.LBB0_17:
	s_or_b64 exec, exec, s[2:3]
	s_waitcnt lgkmcnt(0)
	v_pk_add_f32 v[62:63], v[22:23], v[26:27] neg_lo:[0,1] neg_hi:[0,1]
	v_pk_add_f32 v[26:27], v[24:25], v[28:29] neg_lo:[0,1] neg_hi:[0,1]
	v_mov_b32_e32 v54, v4
	v_mov_b32_e32 v55, v4
	;; [unrolled: 1-line block ×12, first 2 shown]
	v_pk_add_f32 v[20:21], v[18:19], v[20:21] neg_lo:[0,1] neg_hi:[0,1]
	v_pk_fma_f32 v[60:61], v[22:23], 2.0, v[62:63] op_sel_hi:[1,0,1] neg_lo:[0,0,1] neg_hi:[0,0,1]
	v_pk_fma_f32 v[24:25], v[24:25], 2.0, v[26:27] op_sel_hi:[1,0,1] neg_lo:[0,0,1] neg_hi:[0,0,1]
	s_barrier
	ds_write_b128 v57, v[60:63]
	ds_write_b128 v59, v[24:27]
	s_and_saveexec_b64 s[2:3], vcc
	s_cbranch_execz .LBB0_19
; %bb.18:
	v_pk_fma_f32 v[18:19], v[18:19], 2.0, v[20:21] op_sel_hi:[1,0,1] neg_lo:[0,0,1] neg_hi:[0,0,1]
	ds_write_b128 v31, v[18:21]
.LBB0_19:
	s_or_b64 exec, exec, s[2:3]
	s_waitcnt lgkmcnt(0)
	s_barrier
	ds_read2_b64 v[22:25], v35 offset1:14
	ds_read2_b64 v[26:29], v35 offset0:28 offset1:42
	ds_read_b64 v[18:19], v35 offset:448
	s_mov_b32 s2, 0x3f737871
	s_mov_b32 s10, 0x3f167918
	s_waitcnt lgkmcnt(2)
	v_pk_mul_f32 v[4:5], v[4:5], v[24:25]
	s_waitcnt lgkmcnt(1)
	v_pk_mul_f32 v[0:1], v[0:1], v[28:29]
	v_pk_fma_f32 v[60:61], v[54:55], v[24:25], v[4:5] op_sel:[0,0,1] op_sel_hi:[1,1,0]
	v_pk_fma_f32 v[4:5], v[54:55], v[24:25], v[4:5] op_sel:[0,0,1] op_sel_hi:[1,1,0] neg_lo:[0,0,1] neg_hi:[0,0,1]
	s_mov_b32 s12, 0x3e9e377a
	v_mov_b32_e32 v61, v5
	v_pk_mul_f32 v[4:5], v[6:7], v[26:27]
	s_waitcnt lgkmcnt(0)
	v_pk_fma_f32 v[6:7], v[52:53], v[26:27], v[4:5] op_sel:[0,0,1] op_sel_hi:[1,1,0]
	v_pk_fma_f32 v[4:5], v[52:53], v[26:27], v[4:5] op_sel:[0,0,1] op_sel_hi:[1,1,0] neg_lo:[0,0,1] neg_hi:[0,0,1]
	s_barrier
	v_mov_b32_e32 v7, v5
	v_pk_fma_f32 v[4:5], v[50:51], v[28:29], v[0:1] op_sel:[0,0,1] op_sel_hi:[1,1,0]
	v_pk_fma_f32 v[0:1], v[50:51], v[28:29], v[0:1] op_sel:[0,0,1] op_sel_hi:[1,1,0] neg_lo:[0,0,1] neg_hi:[0,0,1]
	v_pk_add_f32 v[50:51], v[60:61], v[6:7] neg_lo:[0,1] neg_hi:[0,1]
	v_mov_b32_e32 v5, v1
	v_pk_mul_f32 v[0:1], v[2:3], v[18:19]
	v_pk_add_f32 v[2:3], v[6:7], v[4:5]
	v_pk_fma_f32 v[24:25], v[48:49], v[18:19], v[0:1] op_sel:[0,0,1] op_sel_hi:[1,1,0]
	v_pk_fma_f32 v[0:1], v[48:49], v[18:19], v[0:1] op_sel:[0,0,1] op_sel_hi:[1,1,0] neg_lo:[0,0,1] neg_hi:[0,0,1]
	v_pk_fma_f32 v[2:3], v[2:3], 0.5, v[22:23] op_sel_hi:[1,0,1] neg_lo:[1,0,0] neg_hi:[1,0,0]
	v_mov_b32_e32 v25, v1
	v_pk_add_f32 v[26:27], v[60:61], v[24:25] neg_lo:[0,1] neg_hi:[0,1]
	v_pk_add_f32 v[28:29], v[6:7], v[4:5] neg_lo:[0,1] neg_hi:[0,1]
	v_pk_mul_f32 v[18:19], v[26:27], s[2:3] op_sel_hi:[1,0]
	v_pk_add_f32 v[52:53], v[24:25], v[4:5] neg_lo:[0,1] neg_hi:[0,1]
	v_pk_mul_f32 v[48:49], v[28:29], s[10:11] op_sel_hi:[1,0]
	v_pk_add_f32 v[50:51], v[50:51], v[52:53]
	v_pk_add_f32 v[52:53], v[2:3], v[18:19] op_sel:[0,1] op_sel_hi:[1,0] neg_lo:[0,1] neg_hi:[0,1]
	v_pk_add_f32 v[2:3], v[2:3], v[18:19] op_sel:[0,1] op_sel_hi:[1,0]
	v_pk_add_f32 v[0:1], v[22:23], v[60:61]
	v_pk_add_f32 v[18:19], v[2:3], v[48:49] op_sel:[0,1] op_sel_hi:[1,0]
	v_pk_add_f32 v[48:49], v[52:53], v[48:49] op_sel:[0,1] op_sel_hi:[1,0] neg_lo:[0,1] neg_hi:[0,1]
	v_pk_add_f32 v[0:1], v[0:1], v[6:7]
	v_mov_b32_e32 v2, v48
	v_mov_b32_e32 v3, v19
	;; [unrolled: 1-line block ×3, first 2 shown]
	v_pk_add_f32 v[48:49], v[60:61], v[24:25]
	v_pk_add_f32 v[0:1], v[0:1], v[4:5]
	v_pk_fma_f32 v[22:23], v[48:49], 0.5, v[22:23] op_sel_hi:[1,0,1] neg_lo:[1,0,0] neg_hi:[1,0,0]
	v_pk_mul_f32 v[28:29], v[28:29], s[2:3] op_sel_hi:[1,0]
	v_pk_add_f32 v[6:7], v[6:7], v[60:61] neg_lo:[0,1] neg_hi:[0,1]
	v_pk_add_f32 v[4:5], v[4:5], v[24:25] neg_lo:[0,1] neg_hi:[0,1]
	v_pk_mul_f32 v[26:27], v[26:27], s[10:11] op_sel_hi:[1,0]
	v_pk_add_f32 v[6:7], v[6:7], v[4:5]
	v_pk_add_f32 v[4:5], v[22:23], v[28:29] op_sel:[0,1] op_sel_hi:[1,0]
	v_pk_add_f32 v[22:23], v[22:23], v[28:29] op_sel:[0,1] op_sel_hi:[1,0] neg_lo:[0,1] neg_hi:[0,1]
	v_pk_add_f32 v[0:1], v[0:1], v[24:25]
	v_pk_add_f32 v[22:23], v[22:23], v[26:27] op_sel:[0,1] op_sel_hi:[1,0]
	v_pk_add_f32 v[24:25], v[4:5], v[26:27] op_sel:[0,1] op_sel_hi:[1,0] neg_lo:[0,1] neg_hi:[0,1]
	v_mov_b32_e32 v5, v23
	v_mov_b32_e32 v4, v24
	;; [unrolled: 1-line block ×3, first 2 shown]
	v_pk_fma_f32 v[2:3], v[50:51], s[12:13], v[2:3] op_sel_hi:[1,0,1]
	v_pk_fma_f32 v[18:19], v[50:51], s[12:13], v[18:19] op_sel_hi:[1,0,1]
	;; [unrolled: 1-line block ×4, first 2 shown]
	ds_write2_b64 v58, v[0:1], v[2:3] offset1:2
	ds_write2_b64 v58, v[4:5], v[6:7] offset0:4 offset1:6
	ds_write_b64 v58, v[18:19] offset:64
	s_waitcnt lgkmcnt(0)
	s_barrier
	s_and_saveexec_b64 s[2:3], s[0:1]
	s_cbranch_execz .LBB0_21
; %bb.20:
	ds_read2_b64 v[0:3], v35 offset1:10
	ds_read2_b64 v[4:7], v35 offset0:20 offset1:30
	ds_read2_b64 v[18:21], v35 offset0:40 offset1:50
	ds_read_b64 v[46:47], v35 offset:480
.LBB0_21:
	s_or_b64 exec, exec, s[2:3]
	s_and_saveexec_b64 s[2:3], s[0:1]
	s_cbranch_execz .LBB0_23
; %bb.22:
	v_mov_b32_e32 v24, v17
	v_mov_b32_e32 v25, v16
	s_waitcnt lgkmcnt(2)
	v_pk_mul_f32 v[58:59], v[24:25], v[6:7]
	v_mov_b32_e32 v50, v7
	v_mov_b32_e32 v58, v59
	v_pk_mul_f32 v[16:17], v[16:17], v[6:7]
	v_pk_mul_f32 v[50:51], v[24:25], v[50:51]
	v_pk_fma_f32 v[6:7], v[24:25], v[6:7], v[58:59] neg_lo:[1,0,0] neg_hi:[1,0,0]
	s_waitcnt lgkmcnt(1)
	v_pk_mul_f32 v[24:25], v[44:45], v[18:19]
	v_mov_b32_e32 v22, v45
	v_mov_b32_e32 v23, v44
	s_waitcnt lgkmcnt(0)
	v_pk_mul_f32 v[28:29], v[14:15], v[46:47] op_sel_hi:[1,0]
	v_mov_b32_e32 v46, v47
	v_mov_b32_e32 v24, v25
	v_pk_mul_f32 v[26:27], v[8:9], v[2:3] op_sel_hi:[1,0]
	v_pk_mul_f32 v[22:23], v[22:23], v[18:19]
	v_mov_b32_e32 v48, v19
	v_pk_fma_f32 v[18:19], v[44:45], v[18:19], v[24:25] neg_lo:[1,0,0] neg_hi:[1,0,0]
	v_pk_fma_f32 v[24:25], v[14:15], v[46:47], v[28:29] op_sel:[0,0,1] op_sel_hi:[1,0,0] neg_lo:[0,0,1] neg_hi:[0,0,1]
	v_pk_fma_f32 v[14:15], v[14:15], v[46:47], v[28:29] op_sel:[0,0,1] op_sel_hi:[1,0,0]
	v_pk_mul_f32 v[54:55], v[12:13], v[20:21] op_sel_hi:[1,0]
	v_mov_b32_e32 v25, v15
	v_pk_fma_f32 v[14:15], v[8:9], v[2:3], v[26:27] op_sel:[0,1,1] op_sel_hi:[1,1,0] neg_lo:[0,0,1] neg_hi:[0,0,1]
	v_pk_fma_f32 v[2:3], v[8:9], v[2:3], v[26:27] op_sel:[0,1,1] op_sel_hi:[1,1,0]
	v_pk_mul_f32 v[52:53], v[10:11], v[4:5] op_sel_hi:[1,0]
	v_mov_b32_e32 v15, v3
	v_pk_fma_f32 v[2:3], v[12:13], v[20:21], v[54:55] op_sel:[0,1,1] op_sel_hi:[1,1,0] neg_lo:[0,0,1] neg_hi:[0,0,1]
	v_pk_fma_f32 v[8:9], v[12:13], v[20:21], v[54:55] op_sel:[0,1,1] op_sel_hi:[1,1,0]
	v_pk_mul_f32 v[48:49], v[44:45], v[48:49]
	v_mov_b32_e32 v3, v9
	v_pk_fma_f32 v[8:9], v[10:11], v[4:5], v[52:53] op_sel:[0,1,1] op_sel_hi:[1,1,0] neg_lo:[0,0,1] neg_hi:[0,0,1]
	v_pk_fma_f32 v[4:5], v[10:11], v[4:5], v[52:53] op_sel:[0,1,1] op_sel_hi:[1,1,0]
	v_mov_b32_e32 v23, v24
	v_mov_b32_e32 v9, v5
	;; [unrolled: 1-line block ×5, first 2 shown]
	v_pk_add_f32 v[4:5], v[24:25], v[14:15]
	v_pk_add_f32 v[10:11], v[2:3], v[8:9]
	v_pk_add_f32 v[12:13], v[14:15], v[24:25] neg_lo:[0,1] neg_hi:[0,1]
	v_pk_add_f32 v[20:21], v[8:9], v[2:3] neg_lo:[0,1] neg_hi:[0,1]
	v_pk_add_f32 v[14:15], v[22:23], v[48:49]
	v_pk_add_f32 v[2:3], v[16:17], v[50:51]
	v_mov_b32_e32 v19, v14
	v_mov_b32_e32 v7, v2
	v_pk_add_f32 v[8:9], v[18:19], v[6:7] neg_lo:[0,1] neg_hi:[0,1]
	s_mov_b32 s0, 0xbeae86e6
	v_mov_b32_e32 v22, v8
	s_mov_b32 s1, 0x3f08b237
	v_pk_add_f32 v[24:25], v[8:9], v[20:21]
	v_mov_b32_e32 v26, v8
	v_mov_b32_e32 v27, v13
	;; [unrolled: 1-line block ×6, first 2 shown]
	v_pk_add_f32 v[8:9], v[26:27], v[8:9] neg_lo:[0,1] neg_hi:[0,1]
	s_mov_b32 s12, s1
	s_mov_b32 s13, s0
	v_mov_b32_e32 v26, v11
	v_mov_b32_e32 v27, v6
	;; [unrolled: 1-line block ×4, first 2 shown]
	v_pk_add_f32 v[16:17], v[16:17], v[22:23] neg_lo:[0,1] neg_hi:[0,1]
	v_pk_mul_f32 v[8:9], v[8:9], s[12:13]
	v_pk_add_f32 v[6:7], v[26:27], v[6:7]
	v_pk_add_f32 v[18:19], v[2:3], v[14:15]
	v_pk_mul_f32 v[22:23], v[16:17], s[0:1]
	v_pk_fma_f32 v[16:17], v[16:17], s[0:1], v[8:9]
	v_pk_add_f32 v[26:27], v[6:7], v[18:19]
	v_mov_b32_e32 v6, v5
	v_mov_b32_e32 v19, v3
	s_mov_b32 s0, 0x3f4a47b2
	v_pk_add_f32 v[28:29], v[6:7], v[18:19] neg_lo:[0,1] neg_hi:[0,1]
	s_mov_b32 s1, 0x3d64c772
	v_mov_b32_e32 v19, v15
	v_mov_b32_e32 v6, v11
	v_pk_add_f32 v[6:7], v[18:19], v[6:7] neg_lo:[0,1] neg_hi:[0,1]
	s_mov_b32 s12, s1
	s_mov_b32 s13, s0
	v_pk_mul_f32 v[6:7], v[6:7], s[12:13]
	v_pk_add_f32 v[0:1], v[0:1], v[26:27]
	v_pk_mul_f32 v[44:45], v[28:29], s[0:1]
	v_pk_fma_f32 v[18:19], v[28:29], s[0:1], v[6:7]
	s_mov_b32 s0, 0xbf955555
	v_pk_add_f32 v[24:25], v[24:25], v[12:13]
	s_mov_b32 s10, 0xbee1c552
	v_pk_fma_f32 v[26:27], v[26:27], s[0:1], v[0:1] op_sel_hi:[1,0,1]
	v_pk_fma_f32 v[16:17], v[24:25], s[10:11], v[16:17] op_sel_hi:[1,0,1]
	v_pk_add_f32 v[18:19], v[18:19], v[26:27]
	v_mov_b32_e32 v2, v11
	v_mov_b32_e32 v14, v5
	v_pk_add_f32 v[28:29], v[18:19], v[16:17]
	v_pk_add_f32 v[16:17], v[18:19], v[16:17] neg_lo:[0,1] neg_hi:[0,1]
	v_pk_add_f32 v[12:13], v[20:21], v[12:13] neg_lo:[0,1] neg_hi:[0,1]
	s_mov_b32 s0, 0xbf5ff5aa
	v_mov_b32_e32 v18, v22
	v_mov_b32_e32 v19, v9
	v_pk_add_f32 v[2:3], v[2:3], v[14:15] neg_lo:[0,1] neg_hi:[0,1]
	s_mov_b32 s12, 0x3f3bfb3b
	v_mov_b32_e32 v4, v44
	v_mov_b32_e32 v5, v7
	v_pk_fma_f32 v[18:19], v[12:13], s[0:1], v[18:19] op_sel_hi:[1,0,1] neg_lo:[1,0,1] neg_hi:[1,0,1]
	v_pk_fma_f32 v[4:5], v[2:3], s[12:13], v[4:5] op_sel_hi:[1,0,1] neg_lo:[1,0,1] neg_hi:[1,0,1]
	v_pk_fma_f32 v[18:19], v[24:25], s[10:11], v[18:19] op_sel_hi:[1,0,1]
	v_pk_add_f32 v[4:5], v[4:5], v[26:27]
	v_lshl_add_u32 v31, v30, 3, v56
	v_pk_add_f32 v[10:11], v[4:5], v[18:19]
	v_pk_add_f32 v[4:5], v[4:5], v[18:19] neg_lo:[0,1] neg_hi:[0,1]
	ds_write_b64 v35, v[0:1]
	v_mov_b32_e32 v0, v28
	v_mov_b32_e32 v1, v17
	;; [unrolled: 1-line block ×6, first 2 shown]
	ds_write2_b64 v31, v[0:1], v[14:15] offset0:10 offset1:20
	v_pk_fma_f32 v[0:1], v[12:13], s[0:1], v[8:9] op_sel_hi:[1,0,1] neg_lo:[0,0,1] neg_hi:[0,0,1]
	v_pk_fma_f32 v[2:3], v[2:3], s[12:13], v[6:7] op_sel_hi:[1,0,1] neg_lo:[0,0,1] neg_hi:[0,0,1]
	v_pk_fma_f32 v[0:1], v[24:25], s[10:11], v[0:1] op_sel_hi:[1,0,1]
	v_pk_add_f32 v[2:3], v[2:3], v[26:27]
	v_mov_b32_e32 v5, v11
	v_pk_add_f32 v[6:7], v[2:3], v[0:1] neg_lo:[0,1] neg_hi:[0,1]
	v_pk_add_f32 v[0:1], v[2:3], v[0:1]
	v_mov_b32_e32 v2, v6
	v_mov_b32_e32 v3, v1
	;; [unrolled: 1-line block ×4, first 2 shown]
	ds_write2_b64 v31, v[2:3], v[0:1] offset0:30 offset1:40
	ds_write2_b64 v31, v[4:5], v[16:17] offset0:50 offset1:60
.LBB0_23:
	s_or_b64 exec, exec, s[2:3]
	s_waitcnt lgkmcnt(0)
	s_barrier
	ds_read2_b64 v[0:3], v35 offset1:14
	v_mad_u64_u32 v[10:11], s[0:1], s6, v34, 0
	v_mov_b32_e32 v4, v11
	v_mad_u64_u32 v[4:5], s[0:1], s7, v34, v[4:5]
	v_mov_b32_e32 v11, v4
	s_waitcnt lgkmcnt(0)
	v_mul_f32_e32 v4, v41, v1
	v_fmac_f32_e32 v4, v40, v0
	v_mul_f32_e32 v0, v41, v0
	s_mov_b32 s0, 0x1d41d41d
	v_fma_f32 v0, v40, v1, -v0
	s_mov_b32 s1, 0x3f8d41d4
	v_cvt_f64_f32_e32 v[0:1], v0
	v_cvt_f64_f32_e32 v[4:5], v4
	v_mul_f64 v[0:1], v[0:1], s[0:1]
	v_mul_f64 v[4:5], v[4:5], s[0:1]
	v_cvt_f32_f64_e32 v13, v[0:1]
	v_mad_u64_u32 v[0:1], s[2:3], s4, v30, 0
	v_cvt_f32_f64_e32 v12, v[4:5]
	v_mov_b32_e32 v4, v1
	v_mad_u64_u32 v[14:15], s[2:3], s5, v30, v[4:5]
	ds_read2_b64 v[4:7], v35 offset0:35 offset1:49
	v_mov_b32_e32 v8, s8
	v_mov_b32_e32 v9, s9
	;; [unrolled: 1-line block ×3, first 2 shown]
	v_lshl_add_u64 v[8:9], v[10:11], 3, v[8:9]
	v_lshl_add_u64 v[0:1], v[0:1], 3, v[8:9]
	s_waitcnt lgkmcnt(0)
	v_mul_f32_e32 v8, v39, v5
	v_fmac_f32_e32 v8, v38, v4
	v_mul_f32_e32 v4, v39, v4
	v_fma_f32 v4, v38, v5, -v4
	v_cvt_f64_f32_e32 v[8:9], v8
	v_cvt_f64_f32_e32 v[4:5], v4
	v_mul_f64 v[8:9], v[8:9], s[0:1]
	v_mul_f64 v[4:5], v[4:5], s[0:1]
	v_cvt_f32_f64_e32 v8, v[8:9]
	v_cvt_f32_f64_e32 v9, v[4:5]
	v_mul_f32_e32 v4, v43, v3
	v_fmac_f32_e32 v4, v42, v2
	v_mul_f32_e32 v2, v43, v2
	v_fma_f32 v2, v42, v3, -v2
	v_cvt_f64_f32_e32 v[4:5], v4
	v_cvt_f64_f32_e32 v[2:3], v2
	v_mul_f64 v[4:5], v[4:5], s[0:1]
	v_mul_f64 v[2:3], v[2:3], s[0:1]
	v_cvt_f32_f64_e32 v4, v[4:5]
	v_cvt_f32_f64_e32 v5, v[2:3]
	v_mul_f32_e32 v2, v37, v7
	s_mul_i32 s2, s5, 35
	s_mul_hi_u32 s3, s4, 35
	v_fmac_f32_e32 v2, v36, v6
	s_add_i32 s3, s3, s2
	s_mul_i32 s2, s4, 35
	s_mul_hi_u32 s8, s4, 0xffffffeb
	v_cvt_f64_f32_e32 v[2:3], v2
	s_lshl_b64 s[6:7], s[2:3], 3
	s_mulk_i32 s5, 0xffeb
	s_sub_i32 s8, s8, s4
	v_mul_f64 v[2:3], v[2:3], s[0:1]
	global_store_dwordx2 v[0:1], v[12:13], off
	v_lshl_add_u64 v[0:1], v[0:1], 0, s[6:7]
	s_add_i32 s5, s8, s5
	s_mulk_i32 s4, 0xffeb
	v_cvt_f32_f64_e32 v2, v[2:3]
	v_mul_f32_e32 v3, v37, v6
	global_store_dwordx2 v[0:1], v[8:9], off
	v_lshl_add_u64 v[0:1], s[4:5], 3, v[0:1]
	v_fma_f32 v3, v36, v7, -v3
	global_store_dwordx2 v[0:1], v[4:5], off
	v_cvt_f64_f32_e32 v[4:5], v3
	v_mul_f64 v[4:5], v[4:5], s[0:1]
	v_cvt_f32_f64_e32 v3, v[4:5]
	v_lshl_add_u64 v[0:1], v[0:1], 0, s[6:7]
	global_store_dwordx2 v[0:1], v[2:3], off
	s_and_b64 exec, exec, vcc
	s_cbranch_execz .LBB0_25
; %bb.24:
	global_load_dwordx2 v[6:7], v[32:33], off offset:224
	global_load_dwordx2 v[8:9], v[32:33], off offset:504
	ds_read2_b64 v[2:5], v35 offset0:28 offset1:63
	v_lshl_add_u64 v[0:1], s[4:5], 3, v[0:1]
	v_lshl_add_u64 v[10:11], s[2:3], 3, v[0:1]
	s_waitcnt vmcnt(1) lgkmcnt(0)
	v_mul_f32_e32 v12, v3, v7
	v_mul_f32_e32 v7, v2, v7
	s_waitcnt vmcnt(0)
	v_mul_f32_e32 v13, v5, v9
	v_mul_f32_e32 v9, v4, v9
	v_fmac_f32_e32 v12, v2, v6
	v_fma_f32 v6, v6, v3, -v7
	v_fmac_f32_e32 v13, v4, v8
	v_fma_f32 v8, v8, v5, -v9
	v_cvt_f64_f32_e32 v[2:3], v12
	v_cvt_f64_f32_e32 v[4:5], v6
	v_cvt_f64_f32_e32 v[6:7], v13
	v_cvt_f64_f32_e32 v[8:9], v8
	v_mul_f64 v[2:3], v[2:3], s[0:1]
	v_mul_f64 v[4:5], v[4:5], s[0:1]
	;; [unrolled: 1-line block ×4, first 2 shown]
	v_cvt_f32_f64_e32 v2, v[2:3]
	v_cvt_f32_f64_e32 v3, v[4:5]
	;; [unrolled: 1-line block ×4, first 2 shown]
	global_store_dwordx2 v[0:1], v[2:3], off
	global_store_dwordx2 v[10:11], v[4:5], off
.LBB0_25:
	s_endpgm
	.section	.rodata,"a",@progbits
	.p2align	6, 0x0
	.amdhsa_kernel bluestein_single_fwd_len70_dim1_sp_op_CI_CI
		.amdhsa_group_segment_fixed_size 10080
		.amdhsa_private_segment_fixed_size 0
		.amdhsa_kernarg_size 104
		.amdhsa_user_sgpr_count 2
		.amdhsa_user_sgpr_dispatch_ptr 0
		.amdhsa_user_sgpr_queue_ptr 0
		.amdhsa_user_sgpr_kernarg_segment_ptr 1
		.amdhsa_user_sgpr_dispatch_id 0
		.amdhsa_user_sgpr_kernarg_preload_length 0
		.amdhsa_user_sgpr_kernarg_preload_offset 0
		.amdhsa_user_sgpr_private_segment_size 0
		.amdhsa_uses_dynamic_stack 0
		.amdhsa_enable_private_segment 0
		.amdhsa_system_sgpr_workgroup_id_x 1
		.amdhsa_system_sgpr_workgroup_id_y 0
		.amdhsa_system_sgpr_workgroup_id_z 0
		.amdhsa_system_sgpr_workgroup_info 0
		.amdhsa_system_vgpr_workitem_id 0
		.amdhsa_next_free_vgpr 88
		.amdhsa_next_free_sgpr 20
		.amdhsa_accum_offset 88
		.amdhsa_reserve_vcc 1
		.amdhsa_float_round_mode_32 0
		.amdhsa_float_round_mode_16_64 0
		.amdhsa_float_denorm_mode_32 3
		.amdhsa_float_denorm_mode_16_64 3
		.amdhsa_dx10_clamp 1
		.amdhsa_ieee_mode 1
		.amdhsa_fp16_overflow 0
		.amdhsa_tg_split 0
		.amdhsa_exception_fp_ieee_invalid_op 0
		.amdhsa_exception_fp_denorm_src 0
		.amdhsa_exception_fp_ieee_div_zero 0
		.amdhsa_exception_fp_ieee_overflow 0
		.amdhsa_exception_fp_ieee_underflow 0
		.amdhsa_exception_fp_ieee_inexact 0
		.amdhsa_exception_int_div_zero 0
	.end_amdhsa_kernel
	.text
.Lfunc_end0:
	.size	bluestein_single_fwd_len70_dim1_sp_op_CI_CI, .Lfunc_end0-bluestein_single_fwd_len70_dim1_sp_op_CI_CI
                                        ; -- End function
	.section	.AMDGPU.csdata,"",@progbits
; Kernel info:
; codeLenInByte = 5096
; NumSgprs: 26
; NumVgprs: 88
; NumAgprs: 0
; TotalNumVgprs: 88
; ScratchSize: 0
; MemoryBound: 0
; FloatMode: 240
; IeeeMode: 1
; LDSByteSize: 10080 bytes/workgroup (compile time only)
; SGPRBlocks: 3
; VGPRBlocks: 10
; NumSGPRsForWavesPerEU: 26
; NumVGPRsForWavesPerEU: 88
; AccumOffset: 88
; Occupancy: 5
; WaveLimiterHint : 1
; COMPUTE_PGM_RSRC2:SCRATCH_EN: 0
; COMPUTE_PGM_RSRC2:USER_SGPR: 2
; COMPUTE_PGM_RSRC2:TRAP_HANDLER: 0
; COMPUTE_PGM_RSRC2:TGID_X_EN: 1
; COMPUTE_PGM_RSRC2:TGID_Y_EN: 0
; COMPUTE_PGM_RSRC2:TGID_Z_EN: 0
; COMPUTE_PGM_RSRC2:TIDIG_COMP_CNT: 0
; COMPUTE_PGM_RSRC3_GFX90A:ACCUM_OFFSET: 21
; COMPUTE_PGM_RSRC3_GFX90A:TG_SPLIT: 0
	.text
	.p2alignl 6, 3212836864
	.fill 256, 4, 3212836864
	.type	__hip_cuid_66e0f1d1731573b9,@object ; @__hip_cuid_66e0f1d1731573b9
	.section	.bss,"aw",@nobits
	.globl	__hip_cuid_66e0f1d1731573b9
__hip_cuid_66e0f1d1731573b9:
	.byte	0                               ; 0x0
	.size	__hip_cuid_66e0f1d1731573b9, 1

	.ident	"AMD clang version 19.0.0git (https://github.com/RadeonOpenCompute/llvm-project roc-6.4.0 25133 c7fe45cf4b819c5991fe208aaa96edf142730f1d)"
	.section	".note.GNU-stack","",@progbits
	.addrsig
	.addrsig_sym __hip_cuid_66e0f1d1731573b9
	.amdgpu_metadata
---
amdhsa.kernels:
  - .agpr_count:     0
    .args:
      - .actual_access:  read_only
        .address_space:  global
        .offset:         0
        .size:           8
        .value_kind:     global_buffer
      - .actual_access:  read_only
        .address_space:  global
        .offset:         8
        .size:           8
        .value_kind:     global_buffer
      - .actual_access:  read_only
        .address_space:  global
        .offset:         16
        .size:           8
        .value_kind:     global_buffer
      - .actual_access:  read_only
        .address_space:  global
        .offset:         24
        .size:           8
        .value_kind:     global_buffer
      - .actual_access:  read_only
        .address_space:  global
        .offset:         32
        .size:           8
        .value_kind:     global_buffer
      - .offset:         40
        .size:           8
        .value_kind:     by_value
      - .address_space:  global
        .offset:         48
        .size:           8
        .value_kind:     global_buffer
      - .address_space:  global
        .offset:         56
        .size:           8
        .value_kind:     global_buffer
      - .address_space:  global
        .offset:         64
        .size:           8
        .value_kind:     global_buffer
      - .address_space:  global
        .offset:         72
        .size:           8
        .value_kind:     global_buffer
      - .offset:         80
        .size:           4
        .value_kind:     by_value
      - .address_space:  global
        .offset:         88
        .size:           8
        .value_kind:     global_buffer
      - .address_space:  global
        .offset:         96
        .size:           8
        .value_kind:     global_buffer
    .group_segment_fixed_size: 10080
    .kernarg_segment_align: 8
    .kernarg_segment_size: 104
    .language:       OpenCL C
    .language_version:
      - 2
      - 0
    .max_flat_workgroup_size: 252
    .name:           bluestein_single_fwd_len70_dim1_sp_op_CI_CI
    .private_segment_fixed_size: 0
    .sgpr_count:     26
    .sgpr_spill_count: 0
    .symbol:         bluestein_single_fwd_len70_dim1_sp_op_CI_CI.kd
    .uniform_work_group_size: 1
    .uses_dynamic_stack: false
    .vgpr_count:     88
    .vgpr_spill_count: 0
    .wavefront_size: 64
amdhsa.target:   amdgcn-amd-amdhsa--gfx950
amdhsa.version:
  - 1
  - 2
...

	.end_amdgpu_metadata
